;; amdgpu-corpus repo=ROCm/rocFFT kind=compiled arch=gfx1030 opt=O3
	.text
	.amdgcn_target "amdgcn-amd-amdhsa--gfx1030"
	.amdhsa_code_object_version 6
	.protected	fft_rtc_fwd_len1000_factors_10_10_10_wgs_100_tpt_100_halfLds_dp_op_CI_CI_unitstride_sbrr_dirReg ; -- Begin function fft_rtc_fwd_len1000_factors_10_10_10_wgs_100_tpt_100_halfLds_dp_op_CI_CI_unitstride_sbrr_dirReg
	.globl	fft_rtc_fwd_len1000_factors_10_10_10_wgs_100_tpt_100_halfLds_dp_op_CI_CI_unitstride_sbrr_dirReg
	.p2align	8
	.type	fft_rtc_fwd_len1000_factors_10_10_10_wgs_100_tpt_100_halfLds_dp_op_CI_CI_unitstride_sbrr_dirReg,@function
fft_rtc_fwd_len1000_factors_10_10_10_wgs_100_tpt_100_halfLds_dp_op_CI_CI_unitstride_sbrr_dirReg: ; @fft_rtc_fwd_len1000_factors_10_10_10_wgs_100_tpt_100_halfLds_dp_op_CI_CI_unitstride_sbrr_dirReg
; %bb.0:
	s_clause 0x2
	s_load_dwordx4 s[12:15], s[4:5], 0x0
	s_load_dwordx4 s[8:11], s[4:5], 0x58
	;; [unrolled: 1-line block ×3, first 2 shown]
	v_mul_u32_u24_e32 v2, 0x290, v0
	v_mov_b32_e32 v1, 0
	v_mov_b32_e32 v4, 0
	;; [unrolled: 1-line block ×3, first 2 shown]
	v_add_nc_u32_sdwa v6, s6, v2 dst_sel:DWORD dst_unused:UNUSED_PAD src0_sel:DWORD src1_sel:WORD_1
	v_mov_b32_e32 v7, v1
	s_waitcnt lgkmcnt(0)
	v_cmp_lt_u64_e64 s0, s[14:15], 2
	s_and_b32 vcc_lo, exec_lo, s0
	s_cbranch_vccnz .LBB0_8
; %bb.1:
	s_load_dwordx2 s[0:1], s[4:5], 0x10
	v_mov_b32_e32 v4, 0
	v_mov_b32_e32 v5, 0
	s_add_u32 s2, s18, 8
	s_addc_u32 s3, s19, 0
	s_add_u32 s6, s16, 8
	s_addc_u32 s7, s17, 0
	v_mov_b32_e32 v41, v5
	v_mov_b32_e32 v40, v4
	s_mov_b64 s[22:23], 1
	s_waitcnt lgkmcnt(0)
	s_add_u32 s20, s0, 8
	s_addc_u32 s21, s1, 0
.LBB0_2:                                ; =>This Inner Loop Header: Depth=1
	s_load_dwordx2 s[24:25], s[20:21], 0x0
                                        ; implicit-def: $vgpr42_vgpr43
	s_mov_b32 s0, exec_lo
	s_waitcnt lgkmcnt(0)
	v_or_b32_e32 v2, s25, v7
	v_cmpx_ne_u64_e32 0, v[1:2]
	s_xor_b32 s1, exec_lo, s0
	s_cbranch_execz .LBB0_4
; %bb.3:                                ;   in Loop: Header=BB0_2 Depth=1
	v_cvt_f32_u32_e32 v2, s24
	v_cvt_f32_u32_e32 v3, s25
	s_sub_u32 s0, 0, s24
	s_subb_u32 s26, 0, s25
	v_fmac_f32_e32 v2, 0x4f800000, v3
	v_rcp_f32_e32 v2, v2
	v_mul_f32_e32 v2, 0x5f7ffffc, v2
	v_mul_f32_e32 v3, 0x2f800000, v2
	v_trunc_f32_e32 v3, v3
	v_fmac_f32_e32 v2, 0xcf800000, v3
	v_cvt_u32_f32_e32 v3, v3
	v_cvt_u32_f32_e32 v2, v2
	v_mul_lo_u32 v8, s0, v3
	v_mul_hi_u32 v9, s0, v2
	v_mul_lo_u32 v10, s26, v2
	v_add_nc_u32_e32 v8, v9, v8
	v_mul_lo_u32 v9, s0, v2
	v_add_nc_u32_e32 v8, v8, v10
	v_mul_hi_u32 v10, v2, v9
	v_mul_lo_u32 v11, v2, v8
	v_mul_hi_u32 v12, v2, v8
	v_mul_hi_u32 v13, v3, v9
	v_mul_lo_u32 v9, v3, v9
	v_mul_hi_u32 v14, v3, v8
	v_mul_lo_u32 v8, v3, v8
	v_add_co_u32 v10, vcc_lo, v10, v11
	v_add_co_ci_u32_e32 v11, vcc_lo, 0, v12, vcc_lo
	v_add_co_u32 v9, vcc_lo, v10, v9
	v_add_co_ci_u32_e32 v9, vcc_lo, v11, v13, vcc_lo
	v_add_co_ci_u32_e32 v10, vcc_lo, 0, v14, vcc_lo
	v_add_co_u32 v8, vcc_lo, v9, v8
	v_add_co_ci_u32_e32 v9, vcc_lo, 0, v10, vcc_lo
	v_add_co_u32 v2, vcc_lo, v2, v8
	v_add_co_ci_u32_e32 v3, vcc_lo, v3, v9, vcc_lo
	v_mul_hi_u32 v8, s0, v2
	v_mul_lo_u32 v10, s26, v2
	v_mul_lo_u32 v9, s0, v3
	v_add_nc_u32_e32 v8, v8, v9
	v_mul_lo_u32 v9, s0, v2
	v_add_nc_u32_e32 v8, v8, v10
	v_mul_hi_u32 v10, v2, v9
	v_mul_lo_u32 v11, v2, v8
	v_mul_hi_u32 v12, v2, v8
	v_mul_hi_u32 v13, v3, v9
	v_mul_lo_u32 v9, v3, v9
	v_mul_hi_u32 v14, v3, v8
	v_mul_lo_u32 v8, v3, v8
	v_add_co_u32 v10, vcc_lo, v10, v11
	v_add_co_ci_u32_e32 v11, vcc_lo, 0, v12, vcc_lo
	v_add_co_u32 v9, vcc_lo, v10, v9
	v_add_co_ci_u32_e32 v9, vcc_lo, v11, v13, vcc_lo
	v_add_co_ci_u32_e32 v10, vcc_lo, 0, v14, vcc_lo
	v_add_co_u32 v8, vcc_lo, v9, v8
	v_add_co_ci_u32_e32 v9, vcc_lo, 0, v10, vcc_lo
	v_add_co_u32 v8, vcc_lo, v2, v8
	v_add_co_ci_u32_e32 v10, vcc_lo, v3, v9, vcc_lo
	v_mul_hi_u32 v12, v6, v8
	v_mad_u64_u32 v[8:9], null, v7, v8, 0
	v_mad_u64_u32 v[2:3], null, v6, v10, 0
	;; [unrolled: 1-line block ×3, first 2 shown]
	v_add_co_u32 v2, vcc_lo, v12, v2
	v_add_co_ci_u32_e32 v3, vcc_lo, 0, v3, vcc_lo
	v_add_co_u32 v2, vcc_lo, v2, v8
	v_add_co_ci_u32_e32 v2, vcc_lo, v3, v9, vcc_lo
	v_add_co_ci_u32_e32 v3, vcc_lo, 0, v11, vcc_lo
	v_add_co_u32 v8, vcc_lo, v2, v10
	v_add_co_ci_u32_e32 v9, vcc_lo, 0, v3, vcc_lo
	v_mul_lo_u32 v10, s25, v8
	v_mad_u64_u32 v[2:3], null, s24, v8, 0
	v_mul_lo_u32 v11, s24, v9
	v_sub_co_u32 v2, vcc_lo, v6, v2
	v_add3_u32 v3, v3, v11, v10
	v_sub_nc_u32_e32 v10, v7, v3
	v_subrev_co_ci_u32_e64 v10, s0, s25, v10, vcc_lo
	v_add_co_u32 v11, s0, v8, 2
	v_add_co_ci_u32_e64 v12, s0, 0, v9, s0
	v_sub_co_u32 v13, s0, v2, s24
	v_sub_co_ci_u32_e32 v3, vcc_lo, v7, v3, vcc_lo
	v_subrev_co_ci_u32_e64 v10, s0, 0, v10, s0
	v_cmp_le_u32_e32 vcc_lo, s24, v13
	v_cmp_eq_u32_e64 s0, s25, v3
	v_cndmask_b32_e64 v13, 0, -1, vcc_lo
	v_cmp_le_u32_e32 vcc_lo, s25, v10
	v_cndmask_b32_e64 v14, 0, -1, vcc_lo
	v_cmp_le_u32_e32 vcc_lo, s24, v2
	;; [unrolled: 2-line block ×3, first 2 shown]
	v_cndmask_b32_e64 v15, 0, -1, vcc_lo
	v_cmp_eq_u32_e32 vcc_lo, s25, v10
	v_cndmask_b32_e64 v2, v15, v2, s0
	v_cndmask_b32_e32 v10, v14, v13, vcc_lo
	v_add_co_u32 v13, vcc_lo, v8, 1
	v_add_co_ci_u32_e32 v14, vcc_lo, 0, v9, vcc_lo
	v_cmp_ne_u32_e32 vcc_lo, 0, v10
	v_cndmask_b32_e32 v3, v14, v12, vcc_lo
	v_cndmask_b32_e32 v10, v13, v11, vcc_lo
	v_cmp_ne_u32_e32 vcc_lo, 0, v2
	v_cndmask_b32_e32 v43, v9, v3, vcc_lo
	v_cndmask_b32_e32 v42, v8, v10, vcc_lo
.LBB0_4:                                ;   in Loop: Header=BB0_2 Depth=1
	s_andn2_saveexec_b32 s0, s1
	s_cbranch_execz .LBB0_6
; %bb.5:                                ;   in Loop: Header=BB0_2 Depth=1
	v_cvt_f32_u32_e32 v2, s24
	s_sub_i32 s1, 0, s24
	v_mov_b32_e32 v43, v1
	v_rcp_iflag_f32_e32 v2, v2
	v_mul_f32_e32 v2, 0x4f7ffffe, v2
	v_cvt_u32_f32_e32 v2, v2
	v_mul_lo_u32 v3, s1, v2
	v_mul_hi_u32 v3, v2, v3
	v_add_nc_u32_e32 v2, v2, v3
	v_mul_hi_u32 v2, v6, v2
	v_mul_lo_u32 v3, v2, s24
	v_add_nc_u32_e32 v8, 1, v2
	v_sub_nc_u32_e32 v3, v6, v3
	v_subrev_nc_u32_e32 v9, s24, v3
	v_cmp_le_u32_e32 vcc_lo, s24, v3
	v_cndmask_b32_e32 v3, v3, v9, vcc_lo
	v_cndmask_b32_e32 v2, v2, v8, vcc_lo
	v_cmp_le_u32_e32 vcc_lo, s24, v3
	v_add_nc_u32_e32 v8, 1, v2
	v_cndmask_b32_e32 v42, v2, v8, vcc_lo
.LBB0_6:                                ;   in Loop: Header=BB0_2 Depth=1
	s_or_b32 exec_lo, exec_lo, s0
	v_mul_lo_u32 v8, v43, s24
	v_mul_lo_u32 v9, v42, s25
	s_load_dwordx2 s[0:1], s[6:7], 0x0
	v_mad_u64_u32 v[2:3], null, v42, s24, 0
	s_load_dwordx2 s[24:25], s[2:3], 0x0
	s_add_u32 s22, s22, 1
	s_addc_u32 s23, s23, 0
	s_add_u32 s2, s2, 8
	s_addc_u32 s3, s3, 0
	s_add_u32 s6, s6, 8
	v_add3_u32 v3, v3, v9, v8
	v_sub_co_u32 v2, vcc_lo, v6, v2
	s_addc_u32 s7, s7, 0
	s_add_u32 s20, s20, 8
	v_sub_co_ci_u32_e32 v3, vcc_lo, v7, v3, vcc_lo
	s_addc_u32 s21, s21, 0
	s_waitcnt lgkmcnt(0)
	v_mul_lo_u32 v6, s0, v3
	v_mul_lo_u32 v7, s1, v2
	v_mad_u64_u32 v[4:5], null, s0, v2, v[4:5]
	v_mul_lo_u32 v3, s24, v3
	v_mul_lo_u32 v8, s25, v2
	v_mad_u64_u32 v[40:41], null, s24, v2, v[40:41]
	v_cmp_ge_u64_e64 s0, s[22:23], s[14:15]
	v_add3_u32 v5, v7, v5, v6
	v_add3_u32 v41, v8, v41, v3
	s_and_b32 vcc_lo, exec_lo, s0
	s_cbranch_vccnz .LBB0_9
; %bb.7:                                ;   in Loop: Header=BB0_2 Depth=1
	v_mov_b32_e32 v6, v42
	v_mov_b32_e32 v7, v43
	s_branch .LBB0_2
.LBB0_8:
	v_mov_b32_e32 v41, v5
	v_mov_b32_e32 v43, v7
	;; [unrolled: 1-line block ×4, first 2 shown]
.LBB0_9:
	s_load_dwordx2 s[0:1], s[4:5], 0x28
	v_mul_hi_u32 v1, 0x28f5c29, v0
	s_lshl_b64 s[2:3], s[14:15], 3
                                        ; implicit-def: $sgpr4_sgpr5
                                        ; implicit-def: $vgpr46
	s_add_u32 s18, s18, s2
	s_addc_u32 s19, s19, s3
	s_waitcnt lgkmcnt(0)
	v_cmp_gt_u64_e32 vcc_lo, s[0:1], v[42:43]
	v_cmp_le_u64_e64 s0, s[0:1], v[42:43]
	s_and_saveexec_b32 s1, s0
	s_xor_b32 s0, exec_lo, s1
; %bb.10:
	v_mul_u32_u24_e32 v1, 0x64, v1
	s_mov_b64 s[4:5], 0
                                        ; implicit-def: $vgpr4_vgpr5
	v_sub_nc_u32_e32 v46, v0, v1
                                        ; implicit-def: $vgpr1
                                        ; implicit-def: $vgpr0
; %bb.11:
	s_or_saveexec_b32 s1, s0
	v_mov_b32_e32 v45, s5
	v_mov_b32_e32 v44, s4
                                        ; implicit-def: $vgpr6_vgpr7
                                        ; implicit-def: $vgpr2_vgpr3
                                        ; implicit-def: $vgpr10_vgpr11
                                        ; implicit-def: $vgpr14_vgpr15
                                        ; implicit-def: $vgpr26_vgpr27
                                        ; implicit-def: $vgpr30_vgpr31
                                        ; implicit-def: $vgpr34_vgpr35
                                        ; implicit-def: $vgpr38_vgpr39
                                        ; implicit-def: $vgpr22_vgpr23
                                        ; implicit-def: $vgpr18_vgpr19
	s_xor_b32 exec_lo, exec_lo, s1
	s_cbranch_execz .LBB0_13
; %bb.12:
	s_add_u32 s2, s16, s2
	s_addc_u32 s3, s17, s3
	s_load_dwordx2 s[2:3], s[2:3], 0x0
	s_waitcnt lgkmcnt(0)
	v_mul_lo_u32 v6, s3, v42
	v_mul_lo_u32 v7, s2, v43
	v_mad_u64_u32 v[2:3], null, s2, v42, 0
	v_add3_u32 v3, v3, v7, v6
	v_mul_u32_u24_e32 v6, 0x64, v1
	v_lshlrev_b64 v[1:2], 4, v[2:3]
	v_lshlrev_b64 v[3:4], 4, v[4:5]
	v_sub_nc_u32_e32 v46, v0, v6
	v_add_co_u32 v0, s0, s8, v1
	v_add_co_ci_u32_e64 v1, s0, s9, v2, s0
	v_lshlrev_b32_e32 v2, 4, v46
	v_add_co_u32 v0, s0, v0, v3
	v_add_co_ci_u32_e64 v1, s0, v1, v4, s0
	v_add_co_u32 v0, s0, v0, v2
	v_add_co_ci_u32_e64 v1, s0, 0, v1, s0
	s_clause 0x1
	global_load_dwordx4 v[16:19], v[0:1], off
	global_load_dwordx4 v[20:23], v[0:1], off offset:1600
	v_add_co_u32 v2, s0, 0x800, v0
	v_add_co_ci_u32_e64 v3, s0, 0, v1, s0
	v_add_co_u32 v4, s0, 0x1000, v0
	v_add_co_ci_u32_e64 v5, s0, 0, v1, s0
	;; [unrolled: 2-line block ×7, first 2 shown]
	s_clause 0x7
	global_load_dwordx4 v[36:39], v[2:3], off offset:1152
	global_load_dwordx4 v[32:35], v[4:5], off offset:704
	global_load_dwordx4 v[28:31], v[6:7], off offset:256
	global_load_dwordx4 v[24:27], v[6:7], off offset:1856
	global_load_dwordx4 v[12:15], v[8:9], off offset:1408
	global_load_dwordx4 v[8:11], v[10:11], off offset:960
	global_load_dwordx4 v[0:3], v[44:45], off offset:512
	global_load_dwordx4 v[4:7], v[47:48], off offset:64
	v_mov_b32_e32 v47, 0
	v_mov_b32_e32 v44, v46
	;; [unrolled: 1-line block ×3, first 2 shown]
.LBB0_13:
	s_or_b32 exec_lo, exec_lo, s1
	s_waitcnt vmcnt(2)
	v_add_f64 v[49:50], v[8:9], v[24:25]
	s_waitcnt vmcnt(0)
	v_add_f64 v[47:48], v[4:5], v[32:33]
	v_add_f64 v[59:60], v[10:11], v[26:27]
	v_add_f64 v[67:68], v[6:7], v[34:35]
	v_add_f64 v[55:56], v[12:13], v[28:29]
	v_add_f64 v[57:58], v[0:1], v[36:37]
	v_add_f64 v[61:62], v[14:15], v[30:31]
	v_add_f64 v[63:64], v[2:3], v[38:39]
	v_add_f64 v[75:76], v[34:35], -v[6:7]
	v_add_f64 v[71:72], v[26:27], -v[10:11]
	;; [unrolled: 1-line block ×8, first 2 shown]
	s_mov_b32 s0, 0x134454ff
	s_mov_b32 s1, 0x3fee6f0e
	;; [unrolled: 1-line block ×4, first 2 shown]
	v_add_f64 v[51:52], v[36:37], v[16:17]
	v_add_f64 v[53:54], v[38:39], v[18:19]
	v_fma_f64 v[49:50], v[49:50], -0.5, v[20:21]
	v_fma_f64 v[47:48], v[47:48], -0.5, v[20:21]
	;; [unrolled: 1-line block ×8, first 2 shown]
	v_add_f64 v[65:66], v[38:39], -v[2:3]
	v_add_f64 v[87:88], v[34:35], -v[26:27]
	;; [unrolled: 1-line block ×3, first 2 shown]
	v_add_f64 v[20:21], v[32:33], v[20:21]
	v_add_f64 v[22:23], v[34:35], v[22:23]
	v_add_f64 v[32:33], v[30:31], -v[14:15]
	v_add_f64 v[34:35], v[26:27], -v[34:35]
	;; [unrolled: 1-line block ×3, first 2 shown]
	v_add_f64 v[79:80], v[81:82], v[79:80]
	v_add_f64 v[83:84], v[91:92], v[83:84]
	s_mov_b32 s4, 0x4755a5e
	s_mov_b32 s5, 0x3fe2cf23
	;; [unrolled: 1-line block ×4, first 2 shown]
	v_fma_f64 v[63:64], v[75:76], s[0:1], v[49:50]
	v_fma_f64 v[61:62], v[71:72], s[2:3], v[47:48]
	;; [unrolled: 1-line block ×8, first 2 shown]
	v_add_f64 v[69:70], v[36:37], -v[28:29]
	v_add_f64 v[73:74], v[28:29], -v[36:37]
	;; [unrolled: 1-line block ×3, first 2 shown]
	v_add_f64 v[87:88], v[93:94], v[87:88]
	v_add_f64 v[93:94], v[0:1], -v[12:13]
	v_add_f64 v[20:21], v[24:25], v[20:21]
	s_mov_b32 s8, 0x372fe950
	v_add_f64 v[24:25], v[95:96], v[34:35]
	v_fma_f64 v[34:35], v[65:66], s[0:1], v[55:56]
	s_mov_b32 s9, 0x3fd3c6ef
	v_add_f64 v[77:78], v[38:39], -v[30:31]
	v_add_f64 v[38:39], v[30:31], -v[38:39]
	v_add_f64 v[30:31], v[30:31], v[53:54]
	v_add_f64 v[22:23], v[26:27], v[22:23]
	v_fma_f64 v[63:64], v[71:72], s[4:5], v[63:64]
	v_fma_f64 v[61:62], v[75:76], s[4:5], v[61:62]
	;; [unrolled: 1-line block ×4, first 2 shown]
	v_add_f64 v[75:76], v[28:29], -v[12:13]
	v_add_f64 v[71:72], v[12:13], -v[0:1]
	v_add_f64 v[28:29], v[28:29], v[51:52]
	v_fma_f64 v[51:52], v[65:66], s[2:3], v[55:56]
	v_fma_f64 v[55:56], v[89:90], s[6:7], v[81:82]
	;; [unrolled: 1-line block ×7, first 2 shown]
	v_add_f64 v[85:86], v[2:3], -v[14:15]
	v_add_f64 v[53:54], v[93:94], v[69:70]
	v_fma_f64 v[26:27], v[36:37], s[2:3], v[57:58]
	v_fma_f64 v[57:58], v[36:37], s[0:1], v[57:58]
	v_add_f64 v[8:9], v[8:9], v[20:21]
	v_fma_f64 v[20:21], v[32:33], s[4:5], v[34:35]
	s_mov_b32 s14, 0x9b97f4a8
	s_mov_b32 s15, 0x3fe9e377
	v_fma_f64 v[63:64], v[79:80], s[8:9], v[63:64]
	v_fma_f64 v[61:62], v[83:84], s[8:9], v[61:62]
	;; [unrolled: 1-line block ×4, first 2 shown]
	v_add_f64 v[83:84], v[14:15], -v[2:3]
	v_add_f64 v[69:70], v[71:72], v[73:74]
	v_add_f64 v[12:13], v[12:13], v[28:29]
	v_fma_f64 v[28:29], v[75:76], s[0:1], v[18:19]
	v_fma_f64 v[18:19], v[75:76], s[2:3], v[18:19]
	;; [unrolled: 1-line block ×9, first 2 shown]
	v_add_f64 v[77:78], v[85:86], v[77:78]
	v_add_f64 v[14:15], v[14:15], v[30:31]
	;; [unrolled: 1-line block ×3, first 2 shown]
	v_fma_f64 v[22:23], v[75:76], s[6:7], v[26:27]
	v_fma_f64 v[26:27], v[75:76], s[4:5], v[57:58]
	v_add_f64 v[8:9], v[4:5], v[8:9]
	v_mul_f64 v[65:66], v[63:64], s[14:15]
	v_mul_f64 v[67:68], v[61:62], s[8:9]
	;; [unrolled: 1-line block ×4, first 2 shown]
	v_add_f64 v[38:39], v[83:84], v[38:39]
	v_and_b32_e32 v79, 0xff, v46
	v_add_f64 v[0:1], v[0:1], v[12:13]
	v_fma_f64 v[12:13], v[36:37], s[6:7], v[28:29]
	v_fma_f64 v[18:19], v[36:37], s[4:5], v[18:19]
	;; [unrolled: 1-line block ×5, first 2 shown]
	v_mul_f64 v[34:35], v[63:64], s[6:7]
	v_mul_f64 v[53:54], v[55:56], s[8:9]
	;; [unrolled: 1-line block ×4, first 2 shown]
	v_fma_f64 v[61:62], v[69:70], s[8:9], v[16:17]
	v_add_f64 v[2:3], v[2:3], v[14:15]
	v_mul_u32_u24_e32 v4, 10, v46
	v_fma_f64 v[69:70], v[77:78], s[8:9], v[22:23]
	s_load_dwordx2 s[16:17], s[18:19], 0x0
	v_fma_f64 v[63:64], v[51:52], s[4:5], v[65:66]
	v_fma_f64 v[65:66], v[24:25], s[0:1], v[67:68]
	v_fma_f64 v[55:56], v[55:56], s[0:1], -v[71:72]
	v_fma_f64 v[59:60], v[59:60], s[4:5], -v[73:74]
	v_add_f64 v[67:68], v[6:7], v[10:11]
	v_fma_f64 v[71:72], v[77:78], s[8:9], v[26:27]
	v_add_f64 v[5:6], v[8:9], v[0:1]
	v_fma_f64 v[73:74], v[38:39], s[8:9], v[12:13]
	v_fma_f64 v[17:18], v[38:39], s[8:9], v[18:19]
	v_add_f64 v[11:12], v[0:1], -v[8:9]
	v_mul_lo_u16 v1, 0xcd, v79
	v_lshl_add_u32 v20, v4, 3, 0
	v_fma_f64 v[38:39], v[51:52], s[14:15], v[34:35]
	v_fma_f64 v[77:78], v[47:48], s[2:3], -v[53:54]
	v_fma_f64 v[57:58], v[49:50], s[6:7], -v[57:58]
	v_fma_f64 v[75:76], v[24:25], s[8:9], v[36:37]
	v_lshrrev_b16 v1, 11, v1
	v_mad_i32_i24 v0, 0xffffffb8, v46, v20
	v_add_nc_u32_e32 v4, 0x400, v0
	v_add_f64 v[7:8], v[28:29], v[63:64]
	v_add_f64 v[13:14], v[32:33], v[65:66]
	;; [unrolled: 1-line block ×4, first 2 shown]
	v_add_f64 v[21:22], v[28:29], -v[63:64]
	v_add_f64 v[23:24], v[32:33], -v[65:66]
	;; [unrolled: 1-line block ×4, first 2 shown]
	v_add_f64 v[29:30], v[67:68], v[2:3]
	v_add_f64 v[35:36], v[2:3], -v[67:68]
	v_mul_lo_u16 v2, v1, 10
	v_add_f64 v[31:32], v[69:70], v[38:39]
	v_add_f64 v[55:56], v[17:18], -v[77:78]
	v_add_f64 v[33:34], v[71:72], v[57:58]
	v_add_f64 v[57:58], v[71:72], -v[57:58]
	v_add_f64 v[47:48], v[73:74], v[75:76]
	v_add_f64 v[49:50], v[17:18], v[77:78]
	v_add_f64 v[51:52], v[69:70], -v[38:39]
	v_add_f64 v[53:54], v[73:74], -v[75:76]
	v_sub_nc_u16 v2, v46, v2
	v_mov_b32_e32 v3, 9
	ds_write_b128 v20, v[5:8]
	ds_write_b128 v20, v[13:16] offset:16
	ds_write_b128 v20, v[9:12] offset:32
	;; [unrolled: 1-line block ×4, first 2 shown]
	v_mul_u32_u24_sdwa v3, v2, v3 dst_sel:DWORD dst_unused:UNUSED_PAD src0_sel:BYTE_0 src1_sel:DWORD
	v_add_nc_u32_e32 v5, 0x800, v0
	v_add_nc_u32_e32 v7, 0x1800, v0
	;; [unrolled: 1-line block ×3, first 2 shown]
	s_waitcnt lgkmcnt(0)
	v_lshlrev_b32_e32 v3, 4, v3
	s_barrier
	buffer_gl0_inv
	ds_read2_b64 v[8:11], v0 offset1:100
	ds_read2_b64 v[12:15], v4 offset0:72 offset1:172
	ds_read2_b64 v[16:19], v5 offset0:144 offset1:244
	;; [unrolled: 1-line block ×4, first 2 shown]
	s_waitcnt lgkmcnt(0)
	s_barrier
	buffer_gl0_inv
	ds_write_b128 v20, v[29:32]
	ds_write_b128 v20, v[47:50] offset:16
	ds_write_b128 v20, v[33:36] offset:32
	;; [unrolled: 1-line block ×4, first 2 shown]
	s_waitcnt lgkmcnt(0)
	s_barrier
	buffer_gl0_inv
	s_clause 0x8
	global_load_dwordx4 v[29:32], v3, s[12:13] offset:16
	global_load_dwordx4 v[33:36], v3, s[12:13] offset:32
	;; [unrolled: 1-line block ×8, first 2 shown]
	global_load_dwordx4 v[71:74], v3, s[12:13]
	ds_read2_b64 v[75:78], v4 offset0:72 offset1:172
	ds_read2_b64 v[79:82], v5 offset0:144 offset1:244
	ds_read2_b64 v[83:86], v6 offset0:88 offset1:188
	v_mov_b32_e32 v3, 0x320
	v_mov_b32_e32 v39, 3
	v_mul_u32_u24_sdwa v3, v1, v3 dst_sel:DWORD dst_unused:UNUSED_PAD src0_sel:WORD_0 src1_sel:DWORD
	v_lshlrev_b32_sdwa v39, v39, v2 dst_sel:DWORD dst_unused:UNUSED_PAD src0_sel:DWORD src1_sel:BYTE_0
	v_add3_u32 v39, 0, v3, v39
	s_waitcnt vmcnt(8) lgkmcnt(2)
	v_mul_f64 v[87:88], v[75:76], v[31:32]
	v_mul_f64 v[31:32], v[12:13], v[31:32]
	s_waitcnt vmcnt(7)
	v_mul_f64 v[89:90], v[77:78], v[35:36]
	s_waitcnt vmcnt(6) lgkmcnt(1)
	v_mul_f64 v[93:94], v[79:80], v[49:50]
	v_mul_f64 v[91:92], v[14:15], v[35:36]
	ds_read2_b64 v[35:38], v7 offset0:32 offset1:132
	v_fma_f64 v[87:88], v[12:13], v[29:30], -v[87:88]
	v_fma_f64 v[29:30], v[75:76], v[29:30], v[31:32]
	v_mul_f64 v[31:32], v[16:17], v[49:50]
	s_waitcnt vmcnt(5)
	v_mul_f64 v[49:50], v[81:82], v[53:54]
	v_fma_f64 v[75:76], v[14:15], v[33:34], -v[89:90]
	s_waitcnt vmcnt(4) lgkmcnt(1)
	v_mul_f64 v[89:90], v[83:84], v[57:58]
	v_mul_f64 v[57:58], v[21:22], v[57:58]
	;; [unrolled: 1-line block ×3, first 2 shown]
	v_fma_f64 v[16:17], v[16:17], v[47:48], -v[93:94]
	v_fma_f64 v[33:34], v[77:78], v[33:34], v[91:92]
	s_waitcnt vmcnt(3) lgkmcnt(0)
	v_mul_f64 v[77:78], v[35:36], v[61:62]
	ds_read2_b64 v[12:15], v0 offset1:100
	s_waitcnt vmcnt(0) lgkmcnt(0)
	s_barrier
	buffer_gl0_inv
	v_fma_f64 v[31:32], v[79:80], v[47:48], v[31:32]
	v_mul_f64 v[47:48], v[25:26], v[61:62]
	v_fma_f64 v[18:19], v[18:19], v[51:52], -v[49:50]
	v_mul_f64 v[49:50], v[23:24], v[65:66]
	v_mul_f64 v[61:62], v[85:86], v[65:66]
	v_mul_f64 v[65:66], v[27:28], v[69:70]
	v_fma_f64 v[21:22], v[21:22], v[55:56], -v[89:90]
	v_fma_f64 v[55:56], v[83:84], v[55:56], v[57:58]
	v_mul_f64 v[57:58], v[37:38], v[69:70]
	v_mul_f64 v[69:70], v[14:15], v[73:74]
	v_fma_f64 v[51:52], v[81:82], v[51:52], v[53:54]
	v_fma_f64 v[25:26], v[25:26], v[59:60], -v[77:78]
	v_add_f64 v[79:80], v[16:17], -v[87:88]
	v_add_f64 v[77:78], v[12:13], v[29:30]
	v_fma_f64 v[35:36], v[35:36], v[59:60], v[47:48]
	v_mul_f64 v[47:48], v[10:11], v[73:74]
	v_fma_f64 v[49:50], v[85:86], v[63:64], v[49:50]
	v_fma_f64 v[23:24], v[23:24], v[63:64], -v[61:62]
	v_fma_f64 v[37:38], v[37:38], v[67:68], v[65:66]
	v_add_f64 v[53:54], v[16:17], v[21:22]
	v_add_f64 v[59:60], v[31:32], v[55:56]
	v_fma_f64 v[27:28], v[27:28], v[67:68], -v[57:58]
	v_fma_f64 v[10:11], v[10:11], v[71:72], -v[69:70]
	v_add_f64 v[83:84], v[75:76], -v[18:19]
	v_add_f64 v[57:58], v[87:88], v[25:26]
	v_add_f64 v[63:64], v[25:26], -v[21:22]
	v_add_f64 v[81:82], v[21:22], -v[25:26]
	;; [unrolled: 1-line block ×3, first 2 shown]
	v_add_f64 v[73:74], v[8:9], v[87:88]
	v_add_f64 v[93:94], v[33:34], -v[51:52]
	v_add_f64 v[61:62], v[29:30], v[35:36]
	v_fma_f64 v[14:15], v[14:15], v[71:72], v[47:48]
	v_add_f64 v[67:68], v[51:52], v[49:50]
	v_add_f64 v[65:66], v[18:19], v[23:24]
	;; [unrolled: 1-line block ×3, first 2 shown]
	v_add_f64 v[47:48], v[87:88], -v[16:17]
	v_fma_f64 v[59:60], v[59:60], -0.5, v[12:13]
	v_add_f64 v[71:72], v[75:76], v[27:28]
	v_add_f64 v[85:86], v[27:28], -v[23:24]
	v_add_f64 v[95:96], v[10:11], v[75:76]
	v_add_f64 v[75:76], v[75:76], -v[27:28]
	v_add_f64 v[91:92], v[23:24], -v[27:28]
	;; [unrolled: 1-line block ×3, first 2 shown]
	v_fma_f64 v[53:54], v[53:54], -0.5, v[8:9]
	v_fma_f64 v[8:9], v[57:58], -0.5, v[8:9]
	v_add_f64 v[57:58], v[37:38], -v[49:50]
	v_add_f64 v[79:80], v[79:80], v[81:82]
	v_add_f64 v[73:74], v[73:74], v[16:17]
	v_add_f64 v[87:88], v[87:88], -v[25:26]
	v_add_f64 v[16:17], v[16:17], -v[21:22]
	v_fma_f64 v[12:13], v[61:62], -0.5, v[12:13]
	v_add_f64 v[61:62], v[18:19], -v[23:24]
	v_fma_f64 v[67:68], v[67:68], -0.5, v[14:15]
	v_fma_f64 v[65:66], v[65:66], -0.5, v[10:11]
	;; [unrolled: 1-line block ×3, first 2 shown]
	v_add_f64 v[14:15], v[14:15], v[33:34]
	v_add_f64 v[47:48], v[47:48], v[63:64]
	v_fma_f64 v[10:11], v[71:72], -0.5, v[10:11]
	v_add_f64 v[71:72], v[33:34], -v[37:38]
	v_add_f64 v[33:34], v[51:52], -v[33:34]
	;; [unrolled: 1-line block ×3, first 2 shown]
	v_add_f64 v[81:82], v[83:84], v[85:86]
	v_add_f64 v[83:84], v[89:90], v[91:92]
	;; [unrolled: 1-line block ×3, first 2 shown]
	v_add_f64 v[95:96], v[31:32], -v[55:56]
	v_add_f64 v[57:58], v[93:94], v[57:58]
	v_add_f64 v[21:22], v[73:74], v[21:22]
	v_fma_f64 v[85:86], v[75:76], s[2:3], v[67:68]
	v_fma_f64 v[67:68], v[75:76], s[0:1], v[67:68]
	;; [unrolled: 1-line block ×4, first 2 shown]
	v_add_f64 v[14:15], v[14:15], v[51:52]
	v_fma_f64 v[91:92], v[97:98], s[0:1], v[10:11]
	v_fma_f64 v[93:94], v[71:72], s[2:3], v[65:66]
	;; [unrolled: 1-line block ×3, first 2 shown]
	v_add_f64 v[33:34], v[33:34], v[63:64]
	v_fma_f64 v[63:64], v[71:72], s[0:1], v[65:66]
	v_add_f64 v[65:66], v[29:30], -v[35:36]
	v_add_f64 v[18:19], v[18:19], v[23:24]
	v_fma_f64 v[23:24], v[87:88], s[2:3], v[59:60]
	v_fma_f64 v[51:52], v[87:88], s[0:1], v[59:60]
	;; [unrolled: 1-line block ×4, first 2 shown]
	v_add_f64 v[21:22], v[21:22], v[25:26]
	v_fma_f64 v[85:86], v[61:62], s[6:7], v[85:86]
	v_fma_f64 v[61:62], v[61:62], s[4:5], v[67:68]
	;; [unrolled: 1-line block ×4, first 2 shown]
	v_add_f64 v[67:68], v[29:30], -v[31:32]
	v_fma_f64 v[91:92], v[71:72], s[6:7], v[91:92]
	v_fma_f64 v[93:94], v[97:98], s[6:7], v[93:94]
	;; [unrolled: 1-line block ×8, first 2 shown]
	v_add_f64 v[75:76], v[35:36], -v[55:56]
	v_add_f64 v[29:30], v[31:32], -v[29:30]
	v_add_f64 v[31:32], v[77:78], v[31:32]
	v_add_f64 v[77:78], v[55:56], -v[35:36]
	v_add_f64 v[14:15], v[14:15], v[49:50]
	v_fma_f64 v[23:24], v[16:17], s[6:7], v[23:24]
	v_fma_f64 v[16:17], v[16:17], s[4:5], v[51:52]
	;; [unrolled: 1-line block ×8, first 2 shown]
	v_add_f64 v[18:19], v[18:19], v[27:28]
	v_fma_f64 v[91:92], v[83:84], s[8:9], v[91:92]
	v_fma_f64 v[93:94], v[81:82], s[8:9], v[93:94]
	;; [unrolled: 1-line block ×8, first 2 shown]
	v_add_f64 v[67:68], v[67:68], v[75:76]
	v_add_f64 v[31:32], v[31:32], v[55:56]
	;; [unrolled: 1-line block ×4, first 2 shown]
	v_mul_f64 v[61:62], v[85:86], s[4:5]
	v_mul_f64 v[59:60], v[57:58], s[14:15]
	;; [unrolled: 1-line block ×6, first 2 shown]
	v_fma_f64 v[49:50], v[79:80], s[8:9], v[71:72]
	v_mul_f64 v[51:52], v[63:64], s[6:7]
	v_fma_f64 v[27:28], v[47:48], s[8:9], v[73:74]
	v_fma_f64 v[47:48], v[47:48], s[8:9], v[53:54]
	v_mul_f64 v[53:54], v[10:11], s[2:3]
	v_fma_f64 v[8:9], v[79:80], s[8:9], v[8:9]
	v_fma_f64 v[23:24], v[67:68], s[8:9], v[23:24]
	v_add_f64 v[1:2], v[31:32], v[35:36]
	v_fma_f64 v[16:17], v[67:68], s[8:9], v[16:17]
	v_fma_f64 v[25:26], v[29:30], s[8:9], v[25:26]
	;; [unrolled: 1-line block ×3, first 2 shown]
	v_add_f64 v[29:30], v[21:22], v[18:19]
	v_add_f64 v[18:19], v[21:22], -v[18:19]
	v_fma_f64 v[61:62], v[63:64], s[14:15], v[61:62]
	v_fma_f64 v[10:11], v[10:11], s[8:9], v[65:66]
	v_fma_f64 v[37:38], v[91:92], s[2:3], -v[55:56]
	v_fma_f64 v[33:34], v[33:34], s[0:1], -v[69:70]
	v_fma_f64 v[57:58], v[57:58], s[4:5], -v[81:82]
	v_fma_f64 v[31:32], v[85:86], s[14:15], v[51:52]
	v_fma_f64 v[51:52], v[93:94], s[6:7], -v[59:60]
	v_fma_f64 v[35:36], v[89:90], s[8:9], v[53:54]
	v_add_f64 v[21:22], v[27:28], v[61:62]
	v_add_f64 v[27:28], v[27:28], -v[61:62]
	v_add_f64 v[53:54], v[49:50], v[10:11]
	v_add_f64 v[10:11], v[49:50], -v[10:11]
	v_add_f64 v[49:50], v[1:2], -v[14:15]
	v_add_f64 v[55:56], v[8:9], v[33:34]
	v_add_f64 v[59:60], v[47:48], v[57:58]
	v_add_f64 v[8:9], v[8:9], -v[33:34]
	v_add_f64 v[33:34], v[47:48], -v[57:58]
	v_add_f64 v[47:48], v[1:2], v[14:15]
	v_add_f64 v[57:58], v[23:24], v[31:32]
	;; [unrolled: 1-line block ×5, first 2 shown]
	v_add_f64 v[23:24], v[23:24], -v[31:32]
	v_add_f64 v[25:26], v[25:26], -v[35:36]
	;; [unrolled: 1-line block ×4, first 2 shown]
	ds_write2_b64 v39, v[29:30], v[21:22] offset1:10
	ds_write2_b64 v39, v[53:54], v[55:56] offset0:20 offset1:30
	ds_write2_b64 v39, v[59:60], v[18:19] offset0:40 offset1:50
	;; [unrolled: 1-line block ×4, first 2 shown]
	s_waitcnt lgkmcnt(0)
	s_barrier
	buffer_gl0_inv
	ds_read2_b64 v[0:3], v0 offset1:100
	ds_read2_b64 v[8:11], v4 offset0:72 offset1:172
	ds_read2_b64 v[12:15], v5 offset0:144 offset1:244
	;; [unrolled: 1-line block ×4, first 2 shown]
	s_waitcnt lgkmcnt(0)
	s_barrier
	buffer_gl0_inv
	ds_write2_b64 v39, v[47:48], v[57:58] offset1:10
	ds_write2_b64 v39, v[61:62], v[63:64] offset0:20 offset1:30
	ds_write2_b64 v39, v[65:66], v[49:50] offset0:40 offset1:50
	;; [unrolled: 1-line block ×4, first 2 shown]
	s_waitcnt lgkmcnt(0)
	s_barrier
	buffer_gl0_inv
	s_and_saveexec_b32 s18, vcc_lo
	s_cbranch_execz .LBB0_15
; %bb.14:
	v_mul_u32_u24_e32 v21, 9, v46
	v_mul_lo_u32 v39, s17, v42
	v_lshlrev_b32_e32 v37, 4, v21
	s_clause 0x8
	global_load_dwordx4 v[21:24], v37, s[12:13] offset:1472
	global_load_dwordx4 v[25:28], v37, s[12:13] offset:1568
	;; [unrolled: 1-line block ×9, first 2 shown]
	v_mul_i32_i24_e32 v37, 0xffffffb8, v46
	v_mul_lo_u32 v46, s16, v43
	v_mad_u64_u32 v[42:43], null, s16, v42, 0
	v_add_nc_u32_e32 v20, v20, v37
	v_add3_u32 v43, v43, v46, v39
	v_add_nc_u32_e32 v37, 0x400, v20
	v_add_nc_u32_e32 v38, 0x1800, v20
	v_lshlrev_b64 v[39:40], 4, v[40:41]
	ds_read2_b64 v[67:70], v37 offset0:72 offset1:172
	ds_read2_b64 v[71:74], v38 offset0:32 offset1:132
	v_add_nc_u32_e32 v37, 0x800, v20
	v_add_nc_u32_e32 v38, 0x1000, v20
	ds_read2_b64 v[75:78], v37 offset0:144 offset1:244
	ds_read2_b64 v[79:82], v38 offset0:88 offset1:188
	ds_read2_b64 v[83:86], v20 offset1:100
	v_lshlrev_b64 v[41:42], 4, v[42:43]
	v_lshlrev_b64 v[43:44], 4, v[44:45]
	s_waitcnt vmcnt(8) lgkmcnt(4)
	v_mul_f64 v[37:38], v[69:70], v[23:24]
	v_mul_f64 v[23:24], v[10:11], v[23:24]
	s_waitcnt vmcnt(7) lgkmcnt(3)
	v_mul_f64 v[87:88], v[73:74], v[27:28]
	v_mul_f64 v[27:28], v[6:7], v[27:28]
	s_waitcnt vmcnt(6)
	v_mul_f64 v[89:90], v[14:15], v[31:32]
	s_waitcnt vmcnt(5)
	v_mul_f64 v[91:92], v[18:19], v[35:36]
	s_waitcnt lgkmcnt(2)
	v_mul_f64 v[31:32], v[77:78], v[31:32]
	s_waitcnt lgkmcnt(1)
	v_mul_f64 v[35:36], v[81:82], v[35:36]
	s_waitcnt vmcnt(3)
	v_mul_f64 v[95:96], v[8:9], v[53:54]
	s_waitcnt vmcnt(1)
	v_mul_f64 v[99:100], v[16:17], v[61:62]
	v_mul_f64 v[97:98], v[4:5], v[57:58]
	;; [unrolled: 1-line block ×4, first 2 shown]
	v_fma_f64 v[10:11], v[10:11], v[21:22], -v[37:38]
	v_fma_f64 v[20:21], v[21:22], v[69:70], v[23:24]
	v_mul_f64 v[22:23], v[79:80], v[61:62]
	v_mul_f64 v[37:38], v[67:68], v[53:54]
	v_fma_f64 v[6:7], v[6:7], v[25:26], -v[87:88]
	v_fma_f64 v[24:25], v[25:26], v[73:74], v[27:28]
	s_waitcnt vmcnt(0)
	v_mul_f64 v[26:27], v[2:3], v[65:66]
	s_waitcnt lgkmcnt(0)
	v_mul_f64 v[53:54], v[85:86], v[65:66]
	v_fma_f64 v[61:62], v[29:30], v[77:78], v[89:90]
	v_fma_f64 v[65:66], v[33:34], v[81:82], v[91:92]
	v_fma_f64 v[14:15], v[14:15], v[29:30], -v[31:32]
	v_fma_f64 v[18:19], v[18:19], v[33:34], -v[35:36]
	v_add_co_u32 v36, vcc_lo, s10, v41
	v_add_co_ci_u32_e32 v45, vcc_lo, s11, v42, vcc_lo
	v_mul_f64 v[28:29], v[71:72], v[57:58]
	v_add_co_u32 v57, vcc_lo, v36, v39
	v_add_co_ci_u32_e32 v40, vcc_lo, v45, v40, vcc_lo
	v_fma_f64 v[30:31], v[75:76], v[47:48], v[93:94]
	v_fma_f64 v[32:33], v[67:68], v[51:52], v[95:96]
	;; [unrolled: 1-line block ×3, first 2 shown]
	v_fma_f64 v[16:17], v[16:17], v[59:60], -v[22:23]
	v_fma_f64 v[8:9], v[8:9], v[51:52], -v[37:38]
	v_add_f64 v[38:39], v[10:11], v[6:7]
	v_add_f64 v[36:37], v[20:21], v[24:25]
	v_fma_f64 v[22:23], v[63:64], v[85:86], v[26:27]
	v_fma_f64 v[2:3], v[2:3], v[63:64], -v[53:54]
	v_fma_f64 v[41:42], v[79:80], v[59:60], v[99:100]
	v_add_f64 v[26:27], v[61:62], v[65:66]
	v_fma_f64 v[12:13], v[12:13], v[47:48], -v[49:50]
	v_add_f64 v[45:46], v[14:15], v[18:19]
	v_add_co_u32 v43, vcc_lo, v57, v43
	v_add_f64 v[53:54], v[61:62], -v[65:66]
	v_add_f64 v[57:58], v[14:15], -v[18:19]
	v_fma_f64 v[4:5], v[4:5], v[55:56], -v[28:29]
	v_add_f64 v[59:60], v[10:11], -v[6:7]
	v_add_f64 v[63:64], v[20:21], -v[24:25]
	;; [unrolled: 1-line block ×6, first 2 shown]
	v_add_f64 v[55:56], v[32:33], v[34:35]
	v_add_f64 v[81:82], v[14:15], -v[10:11]
	v_add_f64 v[85:86], v[18:19], -v[6:7]
	;; [unrolled: 1-line block ×4, first 2 shown]
	v_fma_f64 v[36:37], v[36:37], -0.5, v[22:23]
	v_fma_f64 v[38:39], v[38:39], -0.5, v[2:3]
	v_add_f64 v[51:52], v[30:31], v[41:42]
	v_fma_f64 v[26:27], v[26:27], -0.5, v[22:23]
	v_add_f64 v[67:68], v[12:13], v[16:17]
	;; [unrolled: 2-line block ×3, first 2 shown]
	v_add_f64 v[22:23], v[32:33], v[83:84]
	v_add_f64 v[91:92], v[0:1], v[8:9]
	;; [unrolled: 1-line block ×4, first 2 shown]
	v_add_f64 v[28:29], v[32:33], -v[30:31]
	v_add_f64 v[49:50], v[34:35], -v[41:42]
	;; [unrolled: 1-line block ×6, first 2 shown]
	v_fma_f64 v[55:56], v[55:56], -0.5, v[83:84]
	v_add_f64 v[71:72], v[71:72], v[73:74]
	v_add_f64 v[73:74], v[75:76], v[77:78]
	;; [unrolled: 1-line block ×4, first 2 shown]
	v_fma_f64 v[99:100], v[57:58], s[2:3], v[36:37]
	v_fma_f64 v[101:102], v[53:54], s[2:3], v[38:39]
	;; [unrolled: 1-line block ×8, first 2 shown]
	v_fma_f64 v[51:52], v[51:52], -0.5, v[83:84]
	v_add_f64 v[83:84], v[30:31], -v[41:42]
	v_fma_f64 v[67:68], v[67:68], -0.5, v[0:1]
	v_fma_f64 v[0:1], v[69:70], -0.5, v[0:1]
	v_add_f64 v[105:106], v[8:9], -v[12:13]
	v_add_f64 v[8:9], v[12:13], -v[8:9]
	v_add_f64 v[22:23], v[30:31], v[22:23]
	v_add_f64 v[20:21], v[61:62], v[20:21]
	;; [unrolled: 1-line block ×4, first 2 shown]
	v_add_f64 v[10:11], v[41:42], -v[34:35]
	v_add_f64 v[69:70], v[4:5], -v[16:17]
	v_add_f64 v[28:29], v[28:29], v[49:50]
	v_fma_f64 v[30:31], v[95:96], s[2:3], v[55:56]
	v_fma_f64 v[85:86], v[59:60], s[4:5], v[99:100]
	;; [unrolled: 1-line block ×16, first 2 shown]
	v_add_f64 v[107:108], v[16:17], -v[4:5]
	v_add_f64 v[22:23], v[41:42], v[22:23]
	v_add_f64 v[20:21], v[65:66], v[20:21]
	v_add_f64 v[12:13], v[12:13], v[16:17]
	v_add_f64 v[2:3], v[18:19], v[2:3]
	v_add_co_ci_u32_e32 v44, vcc_lo, v40, v44, vcc_lo
	v_fma_f64 v[61:62], v[77:78], s[8:9], v[85:86]
	v_fma_f64 v[63:64], v[75:76], s[8:9], v[87:88]
	v_fma_f64 v[36:37], v[77:78], s[8:9], v[36:37]
	v_fma_f64 v[59:60], v[73:74], s[8:9], v[81:82]
	v_fma_f64 v[26:27], v[73:74], s[8:9], v[26:27]
	v_fma_f64 v[67:68], v[71:72], s[8:9], v[89:90]
	v_fma_f64 v[45:46], v[71:72], s[8:9], v[45:46]
	v_fma_f64 v[38:39], v[75:76], s[8:9], v[38:39]
	v_add_f64 v[10:11], v[79:80], v[10:11]
	v_add_f64 v[69:70], v[105:106], v[69:70]
	v_fma_f64 v[14:15], v[95:96], s[4:5], v[14:15]
	v_fma_f64 v[16:17], v[93:94], s[4:5], v[30:31]
	;; [unrolled: 1-line block ×8, first 2 shown]
	v_add_f64 v[8:9], v[8:9], v[107:108]
	v_add_f64 v[22:23], v[34:35], v[22:23]
	;; [unrolled: 1-line block ×4, first 2 shown]
	v_mul_f64 v[53:54], v[61:62], s[8:9]
	v_mul_f64 v[55:56], v[63:64], s[2:3]
	;; [unrolled: 1-line block ×8, first 2 shown]
	v_add_f64 v[12:13], v[6:7], v[2:3]
	v_add_co_u32 v47, vcc_lo, 0x800, v43
	v_fma_f64 v[24:25], v[28:29], s[8:9], v[14:15]
	v_fma_f64 v[16:17], v[10:11], s[8:9], v[16:17]
	;; [unrolled: 1-line block ×5, first 2 shown]
	v_add_co_ci_u32_e32 v48, vcc_lo, 0, v44, vcc_lo
	v_fma_f64 v[49:50], v[8:9], s[8:9], v[49:50]
	v_fma_f64 v[8:9], v[8:9], s[8:9], v[0:1]
	v_add_f64 v[6:7], v[22:23], v[20:21]
	v_add_f64 v[2:3], v[22:23], -v[20:21]
	v_fma_f64 v[38:39], v[38:39], s[2:3], -v[53:54]
	v_fma_f64 v[36:37], v[36:37], s[8:9], v[55:56]
	v_add_co_u32 v77, vcc_lo, 0x1000, v43
	v_fma_f64 v[30:31], v[45:46], s[6:7], -v[51:52]
	v_fma_f64 v[45:46], v[26:27], s[14:15], v[57:58]
	v_fma_f64 v[51:52], v[69:70], s[8:9], v[32:33]
	;; [unrolled: 1-line block ×3, first 2 shown]
	v_fma_f64 v[53:54], v[59:60], s[4:5], -v[65:66]
	v_fma_f64 v[59:60], v[63:64], s[8:9], v[73:74]
	v_fma_f64 v[55:56], v[61:62], s[0:1], -v[71:72]
	v_add_f64 v[0:1], v[4:5], -v[12:13]
	v_add_f64 v[4:5], v[4:5], v[12:13]
	v_add_co_ci_u32_e32 v78, vcc_lo, 0, v44, vcc_lo
	v_add_co_u32 v61, vcc_lo, 0x1800, v43
	v_add_co_ci_u32_e32 v62, vcc_lo, 0, v44, vcc_lo
	v_add_co_u32 v63, vcc_lo, 0x2000, v43
	v_add_co_ci_u32_e32 v64, vcc_lo, 0, v44, vcc_lo
	v_add_f64 v[14:15], v[16:17], -v[38:39]
	v_add_f64 v[18:19], v[34:35], -v[36:37]
	v_add_f64 v[34:35], v[34:35], v[36:37]
	v_add_f64 v[10:11], v[24:25], -v[30:31]
	v_add_f64 v[26:27], v[24:25], v[30:31]
	v_add_f64 v[30:31], v[16:17], v[38:39]
	;; [unrolled: 1-line block ×5, first 2 shown]
	v_add_f64 v[22:23], v[28:29], -v[45:46]
	v_add_f64 v[28:29], v[49:50], v[55:56]
	v_add_f64 v[24:25], v[40:41], v[53:54]
	v_add_f64 v[20:21], v[51:52], -v[57:58]
	v_add_f64 v[16:17], v[8:9], -v[59:60]
	;; [unrolled: 1-line block ×4, first 2 shown]
	v_add_co_u32 v40, vcc_lo, 0x2800, v43
	v_add_co_ci_u32_e32 v41, vcc_lo, 0, v44, vcc_lo
	v_add_co_u32 v45, vcc_lo, 0x3000, v43
	v_add_co_ci_u32_e32 v46, vcc_lo, 0, v44, vcc_lo
	;; [unrolled: 2-line block ×3, first 2 shown]
	global_store_dwordx4 v[43:44], v[4:7], off
	global_store_dwordx4 v[61:62], v[0:3], off offset:1856
	global_store_dwordx4 v[43:44], v[36:39], off offset:1600
	;; [unrolled: 1-line block ×9, first 2 shown]
.LBB0_15:
	s_endpgm
	.section	.rodata,"a",@progbits
	.p2align	6, 0x0
	.amdhsa_kernel fft_rtc_fwd_len1000_factors_10_10_10_wgs_100_tpt_100_halfLds_dp_op_CI_CI_unitstride_sbrr_dirReg
		.amdhsa_group_segment_fixed_size 0
		.amdhsa_private_segment_fixed_size 0
		.amdhsa_kernarg_size 104
		.amdhsa_user_sgpr_count 6
		.amdhsa_user_sgpr_private_segment_buffer 1
		.amdhsa_user_sgpr_dispatch_ptr 0
		.amdhsa_user_sgpr_queue_ptr 0
		.amdhsa_user_sgpr_kernarg_segment_ptr 1
		.amdhsa_user_sgpr_dispatch_id 0
		.amdhsa_user_sgpr_flat_scratch_init 0
		.amdhsa_user_sgpr_private_segment_size 0
		.amdhsa_wavefront_size32 1
		.amdhsa_uses_dynamic_stack 0
		.amdhsa_system_sgpr_private_segment_wavefront_offset 0
		.amdhsa_system_sgpr_workgroup_id_x 1
		.amdhsa_system_sgpr_workgroup_id_y 0
		.amdhsa_system_sgpr_workgroup_id_z 0
		.amdhsa_system_sgpr_workgroup_info 0
		.amdhsa_system_vgpr_workitem_id 0
		.amdhsa_next_free_vgpr 109
		.amdhsa_next_free_sgpr 27
		.amdhsa_reserve_vcc 1
		.amdhsa_reserve_flat_scratch 0
		.amdhsa_float_round_mode_32 0
		.amdhsa_float_round_mode_16_64 0
		.amdhsa_float_denorm_mode_32 3
		.amdhsa_float_denorm_mode_16_64 3
		.amdhsa_dx10_clamp 1
		.amdhsa_ieee_mode 1
		.amdhsa_fp16_overflow 0
		.amdhsa_workgroup_processor_mode 1
		.amdhsa_memory_ordered 1
		.amdhsa_forward_progress 0
		.amdhsa_shared_vgpr_count 0
		.amdhsa_exception_fp_ieee_invalid_op 0
		.amdhsa_exception_fp_denorm_src 0
		.amdhsa_exception_fp_ieee_div_zero 0
		.amdhsa_exception_fp_ieee_overflow 0
		.amdhsa_exception_fp_ieee_underflow 0
		.amdhsa_exception_fp_ieee_inexact 0
		.amdhsa_exception_int_div_zero 0
	.end_amdhsa_kernel
	.text
.Lfunc_end0:
	.size	fft_rtc_fwd_len1000_factors_10_10_10_wgs_100_tpt_100_halfLds_dp_op_CI_CI_unitstride_sbrr_dirReg, .Lfunc_end0-fft_rtc_fwd_len1000_factors_10_10_10_wgs_100_tpt_100_halfLds_dp_op_CI_CI_unitstride_sbrr_dirReg
                                        ; -- End function
	.section	.AMDGPU.csdata,"",@progbits
; Kernel info:
; codeLenInByte = 6960
; NumSgprs: 29
; NumVgprs: 109
; ScratchSize: 0
; MemoryBound: 1
; FloatMode: 240
; IeeeMode: 1
; LDSByteSize: 0 bytes/workgroup (compile time only)
; SGPRBlocks: 3
; VGPRBlocks: 13
; NumSGPRsForWavesPerEU: 29
; NumVGPRsForWavesPerEU: 109
; Occupancy: 9
; WaveLimiterHint : 1
; COMPUTE_PGM_RSRC2:SCRATCH_EN: 0
; COMPUTE_PGM_RSRC2:USER_SGPR: 6
; COMPUTE_PGM_RSRC2:TRAP_HANDLER: 0
; COMPUTE_PGM_RSRC2:TGID_X_EN: 1
; COMPUTE_PGM_RSRC2:TGID_Y_EN: 0
; COMPUTE_PGM_RSRC2:TGID_Z_EN: 0
; COMPUTE_PGM_RSRC2:TIDIG_COMP_CNT: 0
	.text
	.p2alignl 6, 3214868480
	.fill 48, 4, 3214868480
	.type	__hip_cuid_46b3438ca0631699,@object ; @__hip_cuid_46b3438ca0631699
	.section	.bss,"aw",@nobits
	.globl	__hip_cuid_46b3438ca0631699
__hip_cuid_46b3438ca0631699:
	.byte	0                               ; 0x0
	.size	__hip_cuid_46b3438ca0631699, 1

	.ident	"AMD clang version 19.0.0git (https://github.com/RadeonOpenCompute/llvm-project roc-6.4.0 25133 c7fe45cf4b819c5991fe208aaa96edf142730f1d)"
	.section	".note.GNU-stack","",@progbits
	.addrsig
	.addrsig_sym __hip_cuid_46b3438ca0631699
	.amdgpu_metadata
---
amdhsa.kernels:
  - .args:
      - .actual_access:  read_only
        .address_space:  global
        .offset:         0
        .size:           8
        .value_kind:     global_buffer
      - .offset:         8
        .size:           8
        .value_kind:     by_value
      - .actual_access:  read_only
        .address_space:  global
        .offset:         16
        .size:           8
        .value_kind:     global_buffer
      - .actual_access:  read_only
        .address_space:  global
        .offset:         24
        .size:           8
        .value_kind:     global_buffer
      - .actual_access:  read_only
        .address_space:  global
        .offset:         32
        .size:           8
        .value_kind:     global_buffer
      - .offset:         40
        .size:           8
        .value_kind:     by_value
      - .actual_access:  read_only
        .address_space:  global
        .offset:         48
        .size:           8
        .value_kind:     global_buffer
      - .actual_access:  read_only
        .address_space:  global
        .offset:         56
        .size:           8
        .value_kind:     global_buffer
      - .offset:         64
        .size:           4
        .value_kind:     by_value
      - .actual_access:  read_only
        .address_space:  global
        .offset:         72
        .size:           8
        .value_kind:     global_buffer
      - .actual_access:  read_only
        .address_space:  global
        .offset:         80
        .size:           8
        .value_kind:     global_buffer
      - .actual_access:  read_only
        .address_space:  global
        .offset:         88
        .size:           8
        .value_kind:     global_buffer
      - .actual_access:  write_only
        .address_space:  global
        .offset:         96
        .size:           8
        .value_kind:     global_buffer
    .group_segment_fixed_size: 0
    .kernarg_segment_align: 8
    .kernarg_segment_size: 104
    .language:       OpenCL C
    .language_version:
      - 2
      - 0
    .max_flat_workgroup_size: 100
    .name:           fft_rtc_fwd_len1000_factors_10_10_10_wgs_100_tpt_100_halfLds_dp_op_CI_CI_unitstride_sbrr_dirReg
    .private_segment_fixed_size: 0
    .sgpr_count:     29
    .sgpr_spill_count: 0
    .symbol:         fft_rtc_fwd_len1000_factors_10_10_10_wgs_100_tpt_100_halfLds_dp_op_CI_CI_unitstride_sbrr_dirReg.kd
    .uniform_work_group_size: 1
    .uses_dynamic_stack: false
    .vgpr_count:     109
    .vgpr_spill_count: 0
    .wavefront_size: 32
    .workgroup_processor_mode: 1
amdhsa.target:   amdgcn-amd-amdhsa--gfx1030
amdhsa.version:
  - 1
  - 2
...

	.end_amdgpu_metadata
